;; amdgpu-corpus repo=ROCm/rocFFT kind=compiled arch=gfx1030 opt=O3
	.text
	.amdgcn_target "amdgcn-amd-amdhsa--gfx1030"
	.amdhsa_code_object_version 6
	.protected	fft_rtc_back_len630_factors_3_3_5_7_2_wgs_63_tpt_63_halfLds_half_op_CI_CI_unitstride_sbrr_R2C_dirReg ; -- Begin function fft_rtc_back_len630_factors_3_3_5_7_2_wgs_63_tpt_63_halfLds_half_op_CI_CI_unitstride_sbrr_R2C_dirReg
	.globl	fft_rtc_back_len630_factors_3_3_5_7_2_wgs_63_tpt_63_halfLds_half_op_CI_CI_unitstride_sbrr_R2C_dirReg
	.p2align	8
	.type	fft_rtc_back_len630_factors_3_3_5_7_2_wgs_63_tpt_63_halfLds_half_op_CI_CI_unitstride_sbrr_R2C_dirReg,@function
fft_rtc_back_len630_factors_3_3_5_7_2_wgs_63_tpt_63_halfLds_half_op_CI_CI_unitstride_sbrr_R2C_dirReg: ; @fft_rtc_back_len630_factors_3_3_5_7_2_wgs_63_tpt_63_halfLds_half_op_CI_CI_unitstride_sbrr_R2C_dirReg
; %bb.0:
	s_clause 0x2
	s_load_dwordx4 s[12:15], s[4:5], 0x0
	s_load_dwordx4 s[8:11], s[4:5], 0x58
	;; [unrolled: 1-line block ×3, first 2 shown]
	v_mul_u32_u24_e32 v1, 0x411, v0
	v_mov_b32_e32 v3, 0
	v_mov_b32_e32 v12, 0
	;; [unrolled: 1-line block ×3, first 2 shown]
	v_add_nc_u32_sdwa v7, s6, v1 dst_sel:DWORD dst_unused:UNUSED_PAD src0_sel:DWORD src1_sel:WORD_1
	v_mov_b32_e32 v8, v3
	s_waitcnt lgkmcnt(0)
	v_cmp_lt_u64_e64 s0, s[14:15], 2
	s_and_b32 vcc_lo, exec_lo, s0
	s_cbranch_vccnz .LBB0_8
; %bb.1:
	s_load_dwordx2 s[0:1], s[4:5], 0x10
	v_mov_b32_e32 v12, 0
	v_mov_b32_e32 v13, 0
	s_add_u32 s2, s18, 8
	s_addc_u32 s3, s19, 0
	v_mov_b32_e32 v1, v12
	s_add_u32 s6, s16, 8
	v_mov_b32_e32 v2, v13
	s_addc_u32 s7, s17, 0
	s_mov_b64 s[22:23], 1
	s_waitcnt lgkmcnt(0)
	s_add_u32 s20, s0, 8
	s_addc_u32 s21, s1, 0
.LBB0_2:                                ; =>This Inner Loop Header: Depth=1
	s_load_dwordx2 s[24:25], s[20:21], 0x0
                                        ; implicit-def: $vgpr5_vgpr6
	s_mov_b32 s0, exec_lo
	s_waitcnt lgkmcnt(0)
	v_or_b32_e32 v4, s25, v8
	v_cmpx_ne_u64_e32 0, v[3:4]
	s_xor_b32 s1, exec_lo, s0
	s_cbranch_execz .LBB0_4
; %bb.3:                                ;   in Loop: Header=BB0_2 Depth=1
	v_cvt_f32_u32_e32 v4, s24
	v_cvt_f32_u32_e32 v5, s25
	s_sub_u32 s0, 0, s24
	s_subb_u32 s26, 0, s25
	v_fmac_f32_e32 v4, 0x4f800000, v5
	v_rcp_f32_e32 v4, v4
	v_mul_f32_e32 v4, 0x5f7ffffc, v4
	v_mul_f32_e32 v5, 0x2f800000, v4
	v_trunc_f32_e32 v5, v5
	v_fmac_f32_e32 v4, 0xcf800000, v5
	v_cvt_u32_f32_e32 v5, v5
	v_cvt_u32_f32_e32 v4, v4
	v_mul_lo_u32 v6, s0, v5
	v_mul_hi_u32 v9, s0, v4
	v_mul_lo_u32 v10, s26, v4
	v_add_nc_u32_e32 v6, v9, v6
	v_mul_lo_u32 v9, s0, v4
	v_add_nc_u32_e32 v6, v6, v10
	v_mul_hi_u32 v10, v4, v9
	v_mul_lo_u32 v11, v4, v6
	v_mul_hi_u32 v14, v4, v6
	v_mul_hi_u32 v15, v5, v9
	v_mul_lo_u32 v9, v5, v9
	v_mul_hi_u32 v16, v5, v6
	v_mul_lo_u32 v6, v5, v6
	v_add_co_u32 v10, vcc_lo, v10, v11
	v_add_co_ci_u32_e32 v11, vcc_lo, 0, v14, vcc_lo
	v_add_co_u32 v9, vcc_lo, v10, v9
	v_add_co_ci_u32_e32 v9, vcc_lo, v11, v15, vcc_lo
	v_add_co_ci_u32_e32 v10, vcc_lo, 0, v16, vcc_lo
	v_add_co_u32 v6, vcc_lo, v9, v6
	v_add_co_ci_u32_e32 v9, vcc_lo, 0, v10, vcc_lo
	v_add_co_u32 v4, vcc_lo, v4, v6
	v_add_co_ci_u32_e32 v5, vcc_lo, v5, v9, vcc_lo
	v_mul_hi_u32 v6, s0, v4
	v_mul_lo_u32 v10, s26, v4
	v_mul_lo_u32 v9, s0, v5
	v_add_nc_u32_e32 v6, v6, v9
	v_mul_lo_u32 v9, s0, v4
	v_add_nc_u32_e32 v6, v6, v10
	v_mul_hi_u32 v10, v4, v9
	v_mul_lo_u32 v11, v4, v6
	v_mul_hi_u32 v14, v4, v6
	v_mul_hi_u32 v15, v5, v9
	v_mul_lo_u32 v9, v5, v9
	v_mul_hi_u32 v16, v5, v6
	v_mul_lo_u32 v6, v5, v6
	v_add_co_u32 v10, vcc_lo, v10, v11
	v_add_co_ci_u32_e32 v11, vcc_lo, 0, v14, vcc_lo
	v_add_co_u32 v9, vcc_lo, v10, v9
	v_add_co_ci_u32_e32 v9, vcc_lo, v11, v15, vcc_lo
	v_add_co_ci_u32_e32 v10, vcc_lo, 0, v16, vcc_lo
	v_add_co_u32 v6, vcc_lo, v9, v6
	v_add_co_ci_u32_e32 v9, vcc_lo, 0, v10, vcc_lo
	v_add_co_u32 v6, vcc_lo, v4, v6
	v_add_co_ci_u32_e32 v11, vcc_lo, v5, v9, vcc_lo
	v_mul_hi_u32 v16, v7, v6
	v_mad_u64_u32 v[9:10], null, v8, v6, 0
	v_mad_u64_u32 v[4:5], null, v7, v11, 0
	;; [unrolled: 1-line block ×3, first 2 shown]
	v_add_co_u32 v4, vcc_lo, v16, v4
	v_add_co_ci_u32_e32 v5, vcc_lo, 0, v5, vcc_lo
	v_add_co_u32 v4, vcc_lo, v4, v9
	v_add_co_ci_u32_e32 v4, vcc_lo, v5, v10, vcc_lo
	v_add_co_ci_u32_e32 v5, vcc_lo, 0, v15, vcc_lo
	v_add_co_u32 v9, vcc_lo, v4, v14
	v_add_co_ci_u32_e32 v6, vcc_lo, 0, v5, vcc_lo
	v_mul_lo_u32 v10, s25, v9
	v_mad_u64_u32 v[4:5], null, s24, v9, 0
	v_mul_lo_u32 v11, s24, v6
	v_sub_co_u32 v4, vcc_lo, v7, v4
	v_add3_u32 v5, v5, v11, v10
	v_sub_nc_u32_e32 v10, v8, v5
	v_subrev_co_ci_u32_e64 v10, s0, s25, v10, vcc_lo
	v_add_co_u32 v11, s0, v9, 2
	v_add_co_ci_u32_e64 v14, s0, 0, v6, s0
	v_sub_co_u32 v15, s0, v4, s24
	v_sub_co_ci_u32_e32 v5, vcc_lo, v8, v5, vcc_lo
	v_subrev_co_ci_u32_e64 v10, s0, 0, v10, s0
	v_cmp_le_u32_e32 vcc_lo, s24, v15
	v_cmp_eq_u32_e64 s0, s25, v5
	v_cndmask_b32_e64 v15, 0, -1, vcc_lo
	v_cmp_le_u32_e32 vcc_lo, s25, v10
	v_cndmask_b32_e64 v16, 0, -1, vcc_lo
	v_cmp_le_u32_e32 vcc_lo, s24, v4
	;; [unrolled: 2-line block ×3, first 2 shown]
	v_cndmask_b32_e64 v17, 0, -1, vcc_lo
	v_cmp_eq_u32_e32 vcc_lo, s25, v10
	v_cndmask_b32_e64 v4, v17, v4, s0
	v_cndmask_b32_e32 v10, v16, v15, vcc_lo
	v_add_co_u32 v15, vcc_lo, v9, 1
	v_add_co_ci_u32_e32 v16, vcc_lo, 0, v6, vcc_lo
	v_cmp_ne_u32_e32 vcc_lo, 0, v10
	v_cndmask_b32_e32 v5, v16, v14, vcc_lo
	v_cndmask_b32_e32 v10, v15, v11, vcc_lo
	v_cmp_ne_u32_e32 vcc_lo, 0, v4
	v_cndmask_b32_e32 v6, v6, v5, vcc_lo
	v_cndmask_b32_e32 v5, v9, v10, vcc_lo
.LBB0_4:                                ;   in Loop: Header=BB0_2 Depth=1
	s_andn2_saveexec_b32 s0, s1
	s_cbranch_execz .LBB0_6
; %bb.5:                                ;   in Loop: Header=BB0_2 Depth=1
	v_cvt_f32_u32_e32 v4, s24
	s_sub_i32 s1, 0, s24
	v_rcp_iflag_f32_e32 v4, v4
	v_mul_f32_e32 v4, 0x4f7ffffe, v4
	v_cvt_u32_f32_e32 v4, v4
	v_mul_lo_u32 v5, s1, v4
	v_mul_hi_u32 v5, v4, v5
	v_add_nc_u32_e32 v4, v4, v5
	v_mul_hi_u32 v4, v7, v4
	v_mul_lo_u32 v5, v4, s24
	v_add_nc_u32_e32 v6, 1, v4
	v_sub_nc_u32_e32 v5, v7, v5
	v_subrev_nc_u32_e32 v9, s24, v5
	v_cmp_le_u32_e32 vcc_lo, s24, v5
	v_cndmask_b32_e32 v5, v5, v9, vcc_lo
	v_cndmask_b32_e32 v4, v4, v6, vcc_lo
	v_cmp_le_u32_e32 vcc_lo, s24, v5
	v_add_nc_u32_e32 v6, 1, v4
	v_cndmask_b32_e32 v5, v4, v6, vcc_lo
	v_mov_b32_e32 v6, v3
.LBB0_6:                                ;   in Loop: Header=BB0_2 Depth=1
	s_or_b32 exec_lo, exec_lo, s0
	v_mul_lo_u32 v4, v6, s24
	v_mul_lo_u32 v11, v5, s25
	s_load_dwordx2 s[0:1], s[6:7], 0x0
	v_mad_u64_u32 v[9:10], null, v5, s24, 0
	s_load_dwordx2 s[24:25], s[2:3], 0x0
	s_add_u32 s22, s22, 1
	s_addc_u32 s23, s23, 0
	s_add_u32 s2, s2, 8
	s_addc_u32 s3, s3, 0
	s_add_u32 s6, s6, 8
	v_add3_u32 v4, v10, v11, v4
	v_sub_co_u32 v7, vcc_lo, v7, v9
	s_addc_u32 s7, s7, 0
	s_add_u32 s20, s20, 8
	v_sub_co_ci_u32_e32 v4, vcc_lo, v8, v4, vcc_lo
	s_addc_u32 s21, s21, 0
	s_waitcnt lgkmcnt(0)
	v_mul_lo_u32 v8, s0, v4
	v_mul_lo_u32 v9, s1, v7
	v_mad_u64_u32 v[12:13], null, s0, v7, v[12:13]
	v_mul_lo_u32 v4, s24, v4
	v_mul_lo_u32 v10, s25, v7
	v_mad_u64_u32 v[1:2], null, s24, v7, v[1:2]
	v_cmp_ge_u64_e64 s0, s[22:23], s[14:15]
	v_add3_u32 v13, v9, v13, v8
	v_add3_u32 v2, v10, v2, v4
	s_and_b32 vcc_lo, exec_lo, s0
	s_cbranch_vccnz .LBB0_9
; %bb.7:                                ;   in Loop: Header=BB0_2 Depth=1
	v_mov_b32_e32 v8, v6
	v_mov_b32_e32 v7, v5
	s_branch .LBB0_2
.LBB0_8:
	v_mov_b32_e32 v1, v12
	v_mov_b32_e32 v5, v7
	;; [unrolled: 1-line block ×4, first 2 shown]
.LBB0_9:
	s_load_dwordx2 s[0:1], s[4:5], 0x28
	v_mul_hi_u32 v4, 0x4104105, v0
	s_lshl_b64 s[4:5], s[14:15], 3
                                        ; implicit-def: $vgpr3
                                        ; implicit-def: $vgpr7
                                        ; implicit-def: $vgpr9
                                        ; implicit-def: $vgpr11
	s_add_u32 s2, s18, s4
	s_addc_u32 s3, s19, s5
	s_waitcnt lgkmcnt(0)
	v_cmp_gt_u64_e32 vcc_lo, s[0:1], v[5:6]
	v_cmp_le_u64_e64 s0, s[0:1], v[5:6]
	s_and_saveexec_b32 s1, s0
	s_xor_b32 s0, exec_lo, s1
; %bb.10:
	v_mul_u32_u24_e32 v3, 63, v4
                                        ; implicit-def: $vgpr4
                                        ; implicit-def: $vgpr12_vgpr13
	v_sub_nc_u32_e32 v3, v0, v3
                                        ; implicit-def: $vgpr0
	v_add_nc_u32_e32 v7, 63, v3
	v_add_nc_u32_e32 v9, 0x7e, v3
	;; [unrolled: 1-line block ×3, first 2 shown]
; %bb.11:
	s_andn2_saveexec_b32 s1, s0
	s_cbranch_execz .LBB0_13
; %bb.12:
	s_add_u32 s4, s16, s4
	s_addc_u32 s5, s17, s5
	s_load_dwordx2 s[4:5], s[4:5], 0x0
	s_waitcnt lgkmcnt(0)
	v_mul_lo_u32 v3, s5, v5
	v_mul_lo_u32 v9, s4, v6
	v_mad_u64_u32 v[7:8], null, s4, v5, 0
	v_add3_u32 v8, v8, v9, v3
	v_mul_u32_u24_e32 v3, 63, v4
	v_lshlrev_b64 v[9:10], 2, v[12:13]
	v_lshlrev_b64 v[7:8], 2, v[7:8]
	v_sub_nc_u32_e32 v3, v0, v3
	v_lshlrev_b32_e32 v11, 2, v3
	v_add_co_u32 v0, s0, s8, v7
	v_add_co_ci_u32_e64 v4, s0, s9, v8, s0
	v_add_nc_u32_e32 v18, 0, v11
	v_add_co_u32 v0, s0, v0, v9
	v_add_co_ci_u32_e64 v4, s0, v4, v10, s0
	v_add_nc_u32_e32 v19, 0x200, v18
	;; [unrolled: 3-line block ×3, first 2 shown]
	v_add_co_u32 v9, s0, 0x800, v7
	v_add_co_ci_u32_e64 v10, s0, 0, v8, s0
	s_clause 0x9
	global_load_dword v0, v[7:8], off
	global_load_dword v4, v[7:8], off offset:252
	global_load_dword v12, v[7:8], off offset:504
	;; [unrolled: 1-line block ×9, first 2 shown]
	v_add_nc_u32_e32 v7, 63, v3
	v_add_nc_u32_e32 v9, 0x7e, v3
	;; [unrolled: 1-line block ×3, first 2 shown]
	s_waitcnt vmcnt(8)
	ds_write2_b32 v18, v0, v4 offset1:63
	v_add_nc_u32_e32 v0, 0x600, v18
	s_waitcnt vmcnt(6)
	ds_write2_b32 v18, v12, v13 offset0:126 offset1:189
	s_waitcnt vmcnt(4)
	ds_write2_b32 v19, v14, v15 offset0:124 offset1:187
	;; [unrolled: 2-line block ×4, first 2 shown]
.LBB0_13:
	s_or_b32 exec_lo, exec_lo, s1
	v_lshl_add_u32 v0, v3, 2, 0
	s_load_dwordx2 s[2:3], s[2:3], 0x0
	s_waitcnt lgkmcnt(0)
	s_barrier
	buffer_gl0_inv
	v_add_nc_u32_e32 v4, 0x400, v0
	v_add_nc_u32_e32 v8, 0x800, v0
	ds_read2_b32 v[14:15], v0 offset0:126 offset1:189
	v_add_nc_u32_e32 v10, 0x200, v0
	v_mad_i32_i24 v21, v7, 12, 0
	ds_read2_b32 v[12:13], v4 offset0:80 offset1:143
	ds_read2_b32 v[16:17], v8 offset0:34 offset1:97
	ds_read2_b32 v[18:19], v0 offset1:63
	ds_read2_b32 v[22:23], v10 offset0:82 offset1:145
	ds_read2_b32 v[24:25], v4 offset0:164 offset1:227
	v_lshl_add_u32 v10, v3, 3, v0
	v_mad_i32_i24 v20, v9, 12, 0
	s_waitcnt lgkmcnt(0)
	s_barrier
	buffer_gl0_inv
	v_cmp_gt_u32_e64 s0, 21, v3
	v_pk_add_f16 v8, v15, v13
	v_pk_add_f16 v26, v13, v17
	v_pk_add_f16 v13, v13, v17 neg_lo:[0,1] neg_hi:[0,1]
	v_pk_add_f16 v27, v14, v12
	v_pk_add_f16 v29, v18, v22
	;; [unrolled: 1-line block ×3, first 2 shown]
	v_pk_add_f16 v31, v22, v24 neg_lo:[0,1] neg_hi:[0,1]
	v_pk_add_f16 v33, v12, v16
	v_pk_add_f16 v34, v12, v16 neg_lo:[0,1] neg_hi:[0,1]
	v_pk_add_f16 v22, v8, v17
	v_pk_fma_f16 v8, v26, 0.5, v15 op_sel_hi:[1,0,1] neg_lo:[1,0,0] neg_hi:[1,0,0]
	v_pk_mul_f16 v12, 0x3aee, v13 op_sel_hi:[0,1]
	v_pk_add_f16 v28, v19, v23
	v_pk_add_f16 v32, v23, v25
	v_pk_add_f16 v23, v23, v25 neg_lo:[0,1] neg_hi:[0,1]
	v_pk_add_f16 v15, v27, v16
	v_pk_fma_f16 v13, v30, 0.5, v18 op_sel_hi:[1,0,1] neg_lo:[1,0,0] neg_hi:[1,0,0]
	v_pk_mul_f16 v16, 0x3aee, v31 op_sel_hi:[0,1]
	v_pk_add_f16 v18, v12, v8 op_sel:[1,0] op_sel_hi:[0,1]
	v_pk_add_f16 v12, v8, v12 op_sel:[0,1] op_sel_hi:[1,0] neg_lo:[0,1] neg_hi:[0,1]
	v_pk_add_f16 v17, v28, v25
	v_pk_fma_f16 v14, v33, 0.5, v14 op_sel_hi:[1,0,1] neg_lo:[1,0,0] neg_hi:[1,0,0]
	v_pk_add_f16 v25, v13, v16 op_sel:[0,1] op_sel_hi:[1,0] neg_lo:[0,1] neg_hi:[0,1]
	v_pk_add_f16 v16, v13, v16 op_sel:[0,1] op_sel_hi:[1,0]
	v_lshrrev_b32_e32 v8, 16, v18
	v_bfi_b32 v13, 0xffff, v18, v12
	v_pk_fma_f16 v18, v32, 0.5, v19 op_sel_hi:[1,0,1] neg_lo:[1,0,0] neg_hi:[1,0,0]
	v_pk_mul_f16 v19, 0x3aee, v23 op_sel_hi:[0,1]
	v_pk_mul_f16 v23, 0x3aee, v34 op_sel_hi:[0,1]
	v_pk_add_f16 v24, v29, v24
	v_bfi_b32 v26, 0xffff, v25, v16
	v_bfi_b32 v16, 0xffff, v16, v25
	v_pk_add_f16 v25, v18, v19 op_sel:[0,1] op_sel_hi:[1,0] neg_lo:[0,1] neg_hi:[0,1]
	v_pk_add_f16 v18, v18, v19 op_sel:[0,1] op_sel_hi:[1,0]
	v_pk_add_f16 v19, v14, v23 op_sel:[0,1] op_sel_hi:[1,0] neg_lo:[0,1] neg_hi:[0,1]
	v_pk_add_f16 v14, v14, v23 op_sel:[0,1] op_sel_hi:[1,0]
	ds_write2_b32 v10, v24, v26 offset1:1
	ds_write_b32 v10, v16 offset:8
	v_bfi_b32 v10, 0xffff, v25, v18
	v_bfi_b32 v16, 0xffff, v18, v25
	;; [unrolled: 1-line block ×4, first 2 shown]
	ds_write2_b32 v21, v17, v10 offset1:1
	ds_write_b32 v21, v16 offset:8
	ds_write2_b32 v20, v15, v18 offset1:1
	ds_write_b32 v20, v14 offset:8
	s_and_saveexec_b32 s1, s0
	s_cbranch_execz .LBB0_15
; %bb.14:
	v_mad_i32_i24 v10, v11, 12, 0
	v_perm_b32 v14, v8, v12, 0x5040100
	ds_write2_b32 v10, v22, v14 offset1:1
	ds_write_b32 v10, v13 offset:8
.LBB0_15:
	s_or_b32 exec_lo, exec_lo, s1
	v_lshlrev_b32_e32 v23, 3, v9
	v_lshlrev_b32_e32 v28, 3, v7
	s_waitcnt lgkmcnt(0)
	s_barrier
	buffer_gl0_inv
	v_sub_nc_u32_e32 v10, v20, v23
	v_sub_nc_u32_e32 v24, v21, v28
	ds_read2_b32 v[14:15], v0 offset1:210
	ds_read2_b32 v[18:19], v4 offset0:164 offset1:227
	ds_read2_b32 v[16:17], v4 offset0:17 offset1:80
	ds_read_b32 v25, v10
	ds_read_b32 v27, v24
	ds_read_b32 v10, v0 offset:2184
	v_lshl_add_u32 v26, v11, 2, 0
	s_and_saveexec_b32 s1, s0
	s_cbranch_execz .LBB0_17
; %bb.16:
	v_add_nc_u32_e32 v4, 0x600, v0
	ds_read2_b32 v[12:13], v4 offset0:15 offset1:225
	ds_read_b32 v22, v26
	s_waitcnt lgkmcnt(1)
	v_lshrrev_b32_e32 v8, 16, v12
.LBB0_17:
	s_or_b32 exec_lo, exec_lo, s1
	v_and_b32_e32 v24, 0xff, v3
	v_and_b32_e32 v4, 0xff, v7
	;; [unrolled: 1-line block ×3, first 2 shown]
	v_mov_b32_e32 v32, 3
	s_waitcnt lgkmcnt(5)
	v_lshrrev_b32_e32 v50, 16, v15
	v_mul_lo_u16 v29, 0xab, v24
	v_mul_lo_u16 v31, 0xab, v4
	s_waitcnt lgkmcnt(4)
	v_lshrrev_b32_e32 v51, 16, v18
	v_lshrrev_b32_e32 v53, 16, v19
	s_waitcnt lgkmcnt(3)
	v_lshrrev_b32_e32 v52, 16, v16
	v_lshrrev_b16 v33, 9, v29
	v_mul_lo_u16 v29, 0xab, v30
	v_lshrrev_b16 v42, 9, v31
	v_and_b32_e32 v31, 0xff, v11
	v_lshrrev_b32_e32 v54, 16, v17
	v_mul_lo_u16 v30, v33, 3
	v_lshrrev_b16 v43, 9, v29
	v_mul_lo_u16 v29, v42, 3
	s_waitcnt lgkmcnt(0)
	v_lshrrev_b32_e32 v55, 16, v10
	v_lshrrev_b32_e32 v56, 16, v13
	v_sub_nc_u16 v44, v3, v30
	v_mul_lo_u16 v30, 0xab, v31
	v_mul_lo_u16 v31, v43, 3
	v_sub_nc_u16 v45, v7, v29
	v_lshrrev_b32_e32 v47, 16, v14
	v_lshlrev_b32_sdwa v29, v32, v44 dst_sel:DWORD dst_unused:UNUSED_PAD src0_sel:DWORD src1_sel:BYTE_0
	v_lshrrev_b16 v30, 9, v30
	v_sub_nc_u16 v46, v9, v31
	v_lshlrev_b32_sdwa v31, v32, v45 dst_sel:DWORD dst_unused:UNUSED_PAD src0_sel:DWORD src1_sel:BYTE_0
	v_lshrrev_b32_e32 v48, 16, v27
	global_load_dwordx2 v[34:35], v29, s[12:13]
	v_lshrrev_b32_e32 v49, 16, v25
	v_lshlrev_b32_sdwa v38, v32, v46 dst_sel:DWORD dst_unused:UNUSED_PAD src0_sel:DWORD src1_sel:BYTE_0
	global_load_dwordx2 v[36:37], v31, s[12:13]
	v_mul_lo_u16 v29, v30, 3
	v_sub_nc_u32_e32 v28, 0, v28
	global_load_dwordx2 v[38:39], v38, s[12:13]
	v_sub_nc_u16 v31, v11, v29
	v_lshlrev_b32_sdwa v29, v32, v31 dst_sel:DWORD dst_unused:UNUSED_PAD src0_sel:DWORD src1_sel:BYTE_0
	v_mov_b32_e32 v32, 36
	global_load_dwordx2 v[40:41], v29, s[12:13]
	v_sub_nc_u32_e32 v29, 0, v23
	v_mov_b32_e32 v23, 2
	v_mul_u32_u24_sdwa v57, v33, v32 dst_sel:DWORD dst_unused:UNUSED_PAD src0_sel:WORD_0 src1_sel:DWORD
	v_mul_u32_u24_sdwa v42, v42, v32 dst_sel:DWORD dst_unused:UNUSED_PAD src0_sel:WORD_0 src1_sel:DWORD
	;; [unrolled: 1-line block ×3, first 2 shown]
	v_lshrrev_b32_e32 v33, 16, v22
	v_lshlrev_b32_sdwa v44, v23, v44 dst_sel:DWORD dst_unused:UNUSED_PAD src0_sel:DWORD src1_sel:BYTE_0
	v_lshlrev_b32_sdwa v45, v23, v45 dst_sel:DWORD dst_unused:UNUSED_PAD src0_sel:DWORD src1_sel:BYTE_0
	;; [unrolled: 1-line block ×3, first 2 shown]
	s_waitcnt vmcnt(0)
	s_barrier
	v_add3_u32 v44, 0, v57, v44
	v_add3_u32 v42, 0, v42, v45
	;; [unrolled: 1-line block ×3, first 2 shown]
	buffer_gl0_inv
	v_mul_f16_sdwa v45, v34, v15 dst_sel:DWORD dst_unused:UNUSED_PAD src0_sel:WORD_1 src1_sel:DWORD
	v_mul_f16_sdwa v46, v35, v18 dst_sel:DWORD dst_unused:UNUSED_PAD src0_sel:WORD_1 src1_sel:DWORD
	;; [unrolled: 1-line block ×9, first 2 shown]
	v_fma_f16 v45, v34, v50, -v45
	v_mul_f16_sdwa v50, v38, v17 dst_sel:DWORD dst_unused:UNUSED_PAD src0_sel:WORD_1 src1_sel:DWORD
	v_fma_f16 v46, v35, v51, -v46
	v_mul_f16_sdwa v51, v39, v55 dst_sel:DWORD dst_unused:UNUSED_PAD src0_sel:WORD_1 src1_sel:DWORD
	v_fmac_f16_e32 v57, v34, v15
	v_mul_f16_sdwa v34, v39, v10 dst_sel:DWORD dst_unused:UNUSED_PAD src0_sel:WORD_1 src1_sel:DWORD
	v_fmac_f16_e32 v58, v35, v18
	v_fmac_f16_e32 v59, v37, v19
	v_fma_f16 v35, v36, v52, -v61
	v_fma_f16 v37, v37, v53, -v60
	v_mul_f16_sdwa v18, v8, v40 dst_sel:DWORD dst_unused:UNUSED_PAD src0_sel:DWORD src1_sel:WORD_1
	v_mul_f16_sdwa v19, v12, v40 dst_sel:DWORD dst_unused:UNUSED_PAD src0_sel:DWORD src1_sel:WORD_1
	v_mul_f16_sdwa v15, v56, v41 dst_sel:DWORD dst_unused:UNUSED_PAD src0_sel:DWORD src1_sel:WORD_1
	v_mul_f16_sdwa v52, v13, v41 dst_sel:DWORD dst_unused:UNUSED_PAD src0_sel:DWORD src1_sel:WORD_1
	v_fmac_f16_e32 v62, v36, v16
	v_fmac_f16_e32 v63, v38, v17
	v_fma_f16 v36, v38, v54, -v50
	v_fmac_f16_e32 v51, v39, v10
	v_fma_f16 v10, v39, v55, -v34
	;; [unrolled: 2-line block ×4, first 2 shown]
	v_add_f16_e32 v12, v57, v58
	v_add_f16_e32 v34, v45, v46
	v_sub_f16_e32 v19, v45, v46
	v_add_f16_e32 v13, v47, v45
	v_add_f16_e32 v40, v62, v59
	v_sub_f16_e32 v41, v35, v37
	v_add_f16_e32 v45, v48, v35
	v_add_f16_e32 v35, v35, v37
	v_add_f16_e32 v53, v63, v51
	v_sub_f16_e32 v54, v36, v10
	v_add_f16_e32 v55, v49, v36
	;; [unrolled: 4-line block ×3, first 2 shown]
	v_add_f16_e32 v61, v17, v16
	v_fmac_f16_e32 v14, -0.5, v12
	v_fmac_f16_e32 v47, -0.5, v34
	v_add_f16_e32 v39, v27, v62
	v_sub_f16_e32 v50, v62, v59
	v_fmac_f16_e32 v27, -0.5, v40
	v_fmac_f16_e32 v48, -0.5, v35
	v_add_f16_e32 v52, v25, v63
	v_sub_f16_e32 v56, v63, v51
	v_fmac_f16_e32 v25, -0.5, v53
	v_fmac_f16_e32 v49, -0.5, v36
	v_sub_f16_e32 v60, v17, v16
	v_sub_f16_e32 v62, v18, v15
	v_add_f16_e32 v58, v8, v58
	v_add_f16_e32 v46, v13, v46
	v_fma_f16 v13, -0.5, v57, v22
	v_fma_f16 v8, -0.5, v61, v33
	v_fmamk_f16 v36, v19, 0xbaee, v14
	v_fmac_f16_e32 v14, 0x3aee, v19
	v_fmamk_f16 v19, v38, 0x3aee, v47
	v_fmac_f16_e32 v47, 0xbaee, v38
	v_add_f16_e32 v34, v39, v59
	v_add_f16_e32 v37, v45, v37
	v_fmamk_f16 v38, v41, 0xbaee, v27
	v_fmamk_f16 v40, v50, 0x3aee, v48
	v_fmac_f16_e32 v27, 0x3aee, v41
	v_fmac_f16_e32 v48, 0xbaee, v50
	v_add_f16_e32 v35, v52, v51
	v_add_f16_e32 v39, v55, v10
	v_fmamk_f16 v41, v54, 0xbaee, v25
	v_fmamk_f16 v45, v56, 0x3aee, v49
	v_fmac_f16_e32 v25, 0x3aee, v54
	v_fmac_f16_e32 v49, 0xbaee, v56
	v_fmamk_f16 v12, v60, 0xbaee, v13
	v_fmac_f16_e32 v13, 0x3aee, v60
	v_fmamk_f16 v10, v62, 0x3aee, v8
	v_fmac_f16_e32 v8, 0xbaee, v62
	v_pack_b32_f16 v46, v58, v46
	v_pack_b32_f16 v19, v36, v19
	;; [unrolled: 1-line block ×9, first 2 shown]
	ds_write2_b32 v44, v46, v19 offset1:3
	ds_write_b32 v44, v14 offset:24
	ds_write2_b32 v42, v34, v36 offset1:3
	ds_write_b32 v42, v27 offset:24
	;; [unrolled: 2-line block ×3, first 2 shown]
	s_and_saveexec_b32 s1, s0
	s_cbranch_execz .LBB0_19
; %bb.18:
	v_add_f16_e32 v14, v33, v17
	v_add_f16_e32 v17, v22, v18
	v_mul_u32_u24_sdwa v18, v30, v32 dst_sel:DWORD dst_unused:UNUSED_PAD src0_sel:WORD_0 src1_sel:DWORD
	v_lshlrev_b32_sdwa v19, v23, v31 dst_sel:DWORD dst_unused:UNUSED_PAD src0_sel:DWORD src1_sel:BYTE_0
	v_add_f16_e32 v14, v14, v16
	v_add_f16_e32 v15, v17, v15
	v_perm_b32 v16, v10, v12, 0x5040100
	v_add3_u32 v17, 0, v18, v19
	v_pack_b32_f16 v14, v15, v14
	v_perm_b32 v15, v8, v13, 0x5040100
	ds_write2_b32 v17, v14, v16 offset1:3
	ds_write_b32 v17, v15 offset:24
.LBB0_19:
	s_or_b32 exec_lo, exec_lo, s1
	v_mul_lo_u16 v14, v24, 57
	s_waitcnt lgkmcnt(0)
	s_barrier
	buffer_gl0_inv
	v_add_nc_u32_e32 v28, v21, v28
	v_lshrrev_b16 v15, 9, v14
	v_mul_lo_u16 v14, v4, 57
	v_add_nc_u32_e32 v41, 0x200, v0
	v_add_nc_u32_e32 v24, 0x600, v0
	;; [unrolled: 1-line block ×3, first 2 shown]
	v_mul_lo_u16 v16, v15, 9
	v_lshrrev_b16 v38, 9, v14
	v_mov_b32_e32 v14, 4
	v_mov_b32_e32 v29, 0xb4
	v_cmp_gt_u32_e64 s0, 27, v3
	v_sub_nc_u16 v39, v3, v16
	v_mul_lo_u16 v16, v38, 9
	v_mul_u32_u24_sdwa v15, v15, v29 dst_sel:DWORD dst_unused:UNUSED_PAD src0_sel:WORD_0 src1_sel:DWORD
	v_mul_u32_u24_sdwa v38, v38, v29 dst_sel:DWORD dst_unused:UNUSED_PAD src0_sel:WORD_0 src1_sel:DWORD
	v_lshlrev_b32_sdwa v17, v14, v39 dst_sel:DWORD dst_unused:UNUSED_PAD src0_sel:DWORD src1_sel:BYTE_0
	v_sub_nc_u16 v40, v7, v16
	v_add_nc_u32_e32 v16, 0x400, v0
	v_lshlrev_b32_sdwa v39, v23, v39 dst_sel:DWORD dst_unused:UNUSED_PAD src0_sel:DWORD src1_sel:BYTE_0
	global_load_dwordx4 v[30:33], v17, s[12:13] offset:24
	v_lshlrev_b32_sdwa v14, v14, v40 dst_sel:DWORD dst_unused:UNUSED_PAD src0_sel:DWORD src1_sel:BYTE_0
	v_lshlrev_b32_sdwa v23, v23, v40 dst_sel:DWORD dst_unused:UNUSED_PAD src0_sel:DWORD src1_sel:BYTE_0
	v_add3_u32 v39, 0, v15, v39
	global_load_dwordx4 v[34:37], v14, s[12:13] offset:24
	ds_read2_b32 v[17:18], v0 offset1:189
	ds_read_b32 v14, v28
	ds_read2_b32 v[19:20], v41 offset0:124 offset1:187
	ds_read2_b32 v[21:22], v16 offset0:122 offset1:185
	;; [unrolled: 1-line block ×3, first 2 shown]
	ds_read_b32 v42, v27
	v_add3_u32 v23, 0, v38, v23
	s_waitcnt vmcnt(0) lgkmcnt(0)
	s_barrier
	buffer_gl0_inv
	v_lshrrev_b32_e32 v29, 16, v14
	v_lshrrev_b32_e32 v48, 16, v19
	;; [unrolled: 1-line block ×10, first 2 shown]
	v_mul_f16_sdwa v15, v30, v47 dst_sel:DWORD dst_unused:UNUSED_PAD src0_sel:WORD_1 src1_sel:DWORD
	v_mul_f16_sdwa v38, v30, v42 dst_sel:DWORD dst_unused:UNUSED_PAD src0_sel:WORD_1 src1_sel:DWORD
	;; [unrolled: 1-line block ×10, first 2 shown]
	v_mul_f16_sdwa v59, v44, v35 dst_sel:DWORD dst_unused:UNUSED_PAD src0_sel:DWORD src1_sel:WORD_1
	v_mul_f16_sdwa v60, v20, v35 dst_sel:DWORD dst_unused:UNUSED_PAD src0_sel:DWORD src1_sel:WORD_1
	;; [unrolled: 1-line block ×6, first 2 shown]
	v_fmac_f16_e32 v15, v30, v42
	v_fma_f16 v30, v30, v47, -v38
	v_fma_f16 v38, v31, v48, -v52
	;; [unrolled: 1-line block ×3, first 2 shown]
	v_fmac_f16_e32 v51, v31, v19
	v_fmac_f16_e32 v53, v32, v21
	;; [unrolled: 1-line block ×3, first 2 shown]
	v_fma_f16 v19, v33, v50, -v56
	v_fmac_f16_e32 v57, v34, v18
	v_fma_f16 v18, v34, v40, -v58
	v_fmac_f16_e32 v59, v20, v35
	;; [unrolled: 2-line block ×4, first 2 shown]
	v_fma_f16 v22, v46, v37, -v64
	v_add_f16_e32 v25, v51, v53
	v_add_f16_e32 v35, v15, v55
	v_sub_f16_e32 v36, v51, v15
	v_sub_f16_e32 v37, v53, v55
	v_add_f16_e32 v44, v38, v42
	v_add_f16_e32 v48, v30, v19
	;; [unrolled: 1-line block ×3, first 2 shown]
	v_sub_f16_e32 v31, v15, v51
	v_sub_f16_e32 v32, v55, v53
	;; [unrolled: 1-line block ×5, first 2 shown]
	v_add_f16_e32 v52, v59, v61
	v_add_f16_e32 v66, v29, v18
	v_add_f16_e32 v67, v20, v21
	v_sub_f16_e32 v33, v30, v19
	v_add_f16_e32 v40, v43, v30
	v_sub_f16_e32 v30, v38, v30
	v_sub_f16_e32 v49, v42, v19
	v_add_f16_e32 v50, v14, v57
	v_add_f16_e32 v62, v57, v63
	;; [unrolled: 1-line block ×3, first 2 shown]
	v_fma_f16 v25, -0.5, v25, v17
	v_fmac_f16_e32 v17, -0.5, v35
	v_add_f16_e32 v35, v36, v37
	v_fma_f16 v37, -0.5, v44, v43
	v_sub_f16_e32 v34, v38, v42
	v_sub_f16_e32 v46, v51, v53
	v_fmac_f16_e32 v43, -0.5, v48
	v_sub_f16_e32 v54, v18, v22
	v_sub_f16_e32 v56, v20, v21
	;; [unrolled: 1-line block ×8, first 2 shown]
	v_add_f16_e32 v24, v24, v51
	v_add_f16_e32 v51, v31, v32
	;; [unrolled: 1-line block ×3, first 2 shown]
	v_fma_f16 v15, -0.5, v52, v14
	v_add_f16_e32 v20, v66, v20
	v_fma_f16 v32, -0.5, v67, v29
	v_sub_f16_e32 v68, v59, v61
	v_add_f16_e32 v31, v40, v38
	v_add_f16_e32 v38, v30, v49
	v_add_f16_e32 v30, v50, v59
	v_fmac_f16_e32 v14, -0.5, v62
	v_fmac_f16_e32 v29, -0.5, v71
	v_fmamk_f16 v48, v33, 0xbb9c, v25
	v_fmamk_f16 v50, v45, 0x3b9c, v37
	;; [unrolled: 1-line block ×3, first 2 shown]
	v_fmac_f16_e32 v17, 0xbb9c, v34
	v_fmamk_f16 v52, v46, 0xbb9c, v43
	v_fmac_f16_e32 v43, 0x3b9c, v46
	v_fmac_f16_e32 v25, 0x3b9c, v33
	;; [unrolled: 1-line block ×3, first 2 shown]
	v_sub_f16_e32 v70, v22, v21
	v_sub_f16_e32 v72, v21, v22
	v_add_f16_e32 v40, v58, v60
	v_fmamk_f16 v58, v54, 0xbb9c, v15
	v_add_f16_e32 v20, v20, v21
	v_fmamk_f16 v21, v57, 0x3b9c, v32
	v_sub_f16_e32 v65, v61, v63
	v_add_f16_e32 v24, v24, v53
	v_add_f16_e32 v42, v31, v42
	;; [unrolled: 1-line block ×3, first 2 shown]
	v_fmamk_f16 v30, v56, 0x3b9c, v14
	v_fmac_f16_e32 v14, 0xbb9c, v56
	v_fmamk_f16 v31, v68, 0xbb9c, v29
	v_fmac_f16_e32 v29, 0x3b9c, v68
	v_fmac_f16_e32 v15, 0x3b9c, v54
	;; [unrolled: 1-line block ×11, first 2 shown]
	v_add_f16_e32 v47, v69, v70
	v_fmac_f16_e32 v58, 0xb8b4, v56
	v_fmac_f16_e32 v21, 0x38b4, v68
	v_add_f16_e32 v44, v64, v65
	v_add_f16_e32 v18, v18, v72
	v_fmac_f16_e32 v30, 0xb8b4, v54
	v_fmac_f16_e32 v14, 0x38b4, v54
	;; [unrolled: 1-line block ×4, first 2 shown]
	v_add_f16_e32 v24, v24, v55
	v_add_f16_e32 v19, v42, v19
	;; [unrolled: 1-line block ×3, first 2 shown]
	v_fmac_f16_e32 v15, 0x38b4, v56
	v_add_f16_e32 v20, v20, v22
	v_fmac_f16_e32 v32, 0xb8b4, v68
	v_fmac_f16_e32 v48, 0x34f2, v51
	;; [unrolled: 1-line block ×17, first 2 shown]
	v_pack_b32_f16 v18, v24, v19
	v_pack_b32_f16 v19, v33, v20
	;; [unrolled: 1-line block ×10, first 2 shown]
	ds_write2_b32 v39, v18, v20 offset1:9
	ds_write2_b32 v39, v22, v17 offset0:18 offset1:27
	ds_write_b32 v39, v24 offset:144
	ds_write2_b32 v23, v19, v21 offset1:9
	ds_write2_b32 v23, v25, v33 offset0:18 offset1:27
	ds_write_b32 v23, v34 offset:144
	s_waitcnt lgkmcnt(0)
	s_barrier
	buffer_gl0_inv
	ds_read2_b32 v[20:21], v0 offset1:90
	ds_read2_b32 v[24:25], v41 offset0:52 offset1:142
	ds_read2_b32 v[22:23], v16 offset0:104 offset1:194
	ds_read_b32 v35, v0 offset:2160
                                        ; implicit-def: $vgpr34
                                        ; implicit-def: $vgpr19
                                        ; implicit-def: $vgpr33
	s_and_saveexec_b32 s1, s0
	s_cbranch_execz .LBB0_21
; %bb.20:
	v_add_nc_u32_e32 v8, 0x800, v0
	ds_read_b32 v30, v28
	ds_read2_b32 v[12:13], v16 offset0:77 offset1:167
	ds_read2_b32 v[18:19], v8 offset0:1 offset1:91
	;; [unrolled: 1-line block ×3, first 2 shown]
	ds_read_u16 v32, v0 offset:974
	s_waitcnt lgkmcnt(4)
	v_lshrrev_b32_e32 v31, 16, v30
	s_waitcnt lgkmcnt(3)
	v_lshrrev_b32_e32 v10, 16, v12
	v_lshrrev_b32_e32 v8, 16, v13
	s_waitcnt lgkmcnt(2)
	v_lshrrev_b32_e32 v33, 16, v18
	;; [unrolled: 3-line block ×3, first 2 shown]
.LBB0_21:
	s_or_b32 exec_lo, exec_lo, s1
	v_subrev_nc_u32_e32 v16, 45, v3
	v_cmp_gt_u32_e64 s1, 45, v3
	v_mov_b32_e32 v17, 0
	s_waitcnt lgkmcnt(2)
	v_lshrrev_b32_e32 v43, 16, v24
	s_waitcnt lgkmcnt(1)
	v_lshrrev_b32_e32 v46, 16, v22
	v_lshrrev_b32_e32 v47, 16, v23
	v_cndmask_b32_e64 v42, v16, v3, s1
	s_waitcnt lgkmcnt(0)
	v_lshrrev_b32_e32 v48, 16, v35
	v_lshrrev_b32_e32 v45, 16, v25
	v_mul_i32_i24_e32 v16, 6, v42
	v_lshlrev_b32_e32 v42, 2, v42
	v_lshlrev_b64 v[36:37], 2, v[16:17]
	v_lshrrev_b32_e32 v16, 16, v21
	v_add_co_u32 v40, s1, s12, v36
	v_add_co_ci_u32_e64 v41, s1, s13, v37, s1
	v_cmp_lt_u32_e64 s1, 44, v3
	s_clause 0x1
	global_load_dwordx4 v[36:39], v[40:41], off offset:168
	global_load_dwordx2 v[40:41], v[40:41], off offset:184
	s_waitcnt vmcnt(0)
	v_cndmask_b32_e64 v44, 0, 0x4ec, s1
	s_barrier
	buffer_gl0_inv
	v_add3_u32 v42, 0, v44, v42
	v_mul_f16_sdwa v44, v36, v16 dst_sel:DWORD dst_unused:UNUSED_PAD src0_sel:WORD_1 src1_sel:DWORD
	v_mul_f16_sdwa v49, v36, v21 dst_sel:DWORD dst_unused:UNUSED_PAD src0_sel:WORD_1 src1_sel:DWORD
	v_mul_f16_sdwa v50, v37, v43 dst_sel:DWORD dst_unused:UNUSED_PAD src0_sel:WORD_1 src1_sel:DWORD
	v_mul_f16_sdwa v51, v37, v24 dst_sel:DWORD dst_unused:UNUSED_PAD src0_sel:WORD_1 src1_sel:DWORD
	v_mul_f16_sdwa v54, v39, v46 dst_sel:DWORD dst_unused:UNUSED_PAD src0_sel:WORD_1 src1_sel:DWORD
	v_mul_f16_sdwa v56, v40, v47 dst_sel:DWORD dst_unused:UNUSED_PAD src0_sel:WORD_1 src1_sel:DWORD
	v_mul_f16_sdwa v57, v40, v23 dst_sel:DWORD dst_unused:UNUSED_PAD src0_sel:WORD_1 src1_sel:DWORD
	v_mul_f16_sdwa v58, v41, v48 dst_sel:DWORD dst_unused:UNUSED_PAD src0_sel:WORD_1 src1_sel:DWORD
	v_mul_f16_sdwa v59, v41, v35 dst_sel:DWORD dst_unused:UNUSED_PAD src0_sel:WORD_1 src1_sel:DWORD
	v_mul_f16_sdwa v52, v38, v45 dst_sel:DWORD dst_unused:UNUSED_PAD src0_sel:WORD_1 src1_sel:DWORD
	v_mul_f16_sdwa v53, v38, v25 dst_sel:DWORD dst_unused:UNUSED_PAD src0_sel:WORD_1 src1_sel:DWORD
	v_mul_f16_sdwa v55, v39, v22 dst_sel:DWORD dst_unused:UNUSED_PAD src0_sel:WORD_1 src1_sel:DWORD
	v_fmac_f16_e32 v44, v36, v21
	v_fma_f16 v16, v36, v16, -v49
	v_fmac_f16_e32 v50, v37, v24
	v_fma_f16 v21, v37, v43, -v51
	v_fmac_f16_e32 v54, v39, v22
	v_fmac_f16_e32 v58, v41, v35
	v_fma_f16 v22, v41, v48, -v59
	v_fmac_f16_e32 v56, v40, v23
	v_fma_f16 v23, v40, v47, -v57
	;; [unrolled: 2-line block ×3, first 2 shown]
	v_fma_f16 v25, v39, v46, -v55
	v_add_f16_e32 v35, v44, v58
	v_add_f16_e32 v36, v16, v22
	v_sub_f16_e32 v16, v16, v22
	v_add_f16_e32 v22, v50, v56
	v_add_f16_e32 v38, v21, v23
	v_sub_f16_e32 v39, v50, v56
	v_sub_f16_e32 v21, v21, v23
	v_add_f16_e32 v23, v52, v54
	v_add_f16_e32 v40, v24, v25
	v_sub_f16_e32 v41, v54, v52
	;; [unrolled: 4-line block ×3, first 2 shown]
	v_sub_f16_e32 v44, v22, v35
	v_sub_f16_e32 v45, v38, v36
	;; [unrolled: 1-line block ×6, first 2 shown]
	v_add_f16_e32 v46, v41, v39
	v_add_f16_e32 v47, v24, v21
	v_sub_f16_e32 v48, v41, v39
	v_sub_f16_e32 v49, v24, v21
	;; [unrolled: 1-line block ×3, first 2 shown]
	v_add_f16_e32 v23, v23, v25
	v_add_f16_e32 v25, v40, v43
	v_sub_f16_e32 v39, v39, v37
	v_sub_f16_e32 v41, v37, v41
	;; [unrolled: 1-line block ×3, first 2 shown]
	v_add_f16_e32 v37, v46, v37
	v_add_f16_e32 v16, v47, v16
	v_mul_f16_e32 v35, 0x3a52, v35
	v_mul_f16_e32 v36, 0x3a52, v36
	;; [unrolled: 1-line block ×7, first 2 shown]
	v_add_f16_e32 v50, v23, v20
	v_add_f16_sdwa v20, v25, v20 dst_sel:DWORD dst_unused:UNUSED_PAD src0_sel:DWORD src1_sel:WORD_1
	v_mul_f16_e32 v48, 0xbb00, v39
	v_fmamk_f16 v22, v22, 0x2b26, v35
	v_fmamk_f16 v38, v38, 0x2b26, v36
	v_fma_f16 v40, v44, 0x39e0, -v40
	v_fma_f16 v43, v45, 0x39e0, -v43
	;; [unrolled: 1-line block ×4, first 2 shown]
	v_fmamk_f16 v44, v41, 0xb574, v46
	v_fmamk_f16 v45, v24, 0xb574, v47
	v_fma_f16 v21, v21, 0xbb00, -v47
	v_fma_f16 v24, v24, 0x3574, -v49
	v_fmamk_f16 v23, v23, 0xbcab, v50
	v_fmamk_f16 v25, v25, 0xbcab, v20
	v_fma_f16 v39, v39, 0xbb00, -v46
	v_fma_f16 v41, v41, 0x3574, -v48
	v_fmac_f16_e32 v44, 0xb70e, v37
	v_fmac_f16_e32 v45, 0xb70e, v16
	v_fmac_f16_e32 v21, 0xb70e, v16
	v_fmac_f16_e32 v24, 0xb70e, v16
	v_pack_b32_f16 v16, v50, v20
	v_add_f16_e32 v20, v22, v23
	v_add_f16_e32 v22, v38, v25
	v_fmac_f16_e32 v39, 0xb70e, v37
	v_fmac_f16_e32 v41, 0xb70e, v37
	v_add_f16_e32 v37, v40, v23
	v_add_f16_e32 v23, v35, v23
	;; [unrolled: 1-line block ×5, first 2 shown]
	v_sub_f16_e32 v38, v22, v44
	v_add_f16_e32 v40, v24, v23
	v_sub_f16_e32 v43, v35, v41
	v_sub_f16_e32 v46, v37, v21
	v_add_f16_e32 v47, v39, v25
	v_add_f16_e32 v21, v21, v37
	v_sub_f16_e32 v25, v25, v39
	v_sub_f16_e32 v23, v23, v24
	v_add_f16_e32 v24, v41, v35
	v_sub_f16_e32 v20, v20, v45
	v_add_f16_e32 v22, v44, v22
	v_pack_b32_f16 v35, v36, v38
	v_pack_b32_f16 v36, v40, v43
	;; [unrolled: 1-line block ×6, first 2 shown]
	ds_write2_b32 v42, v16, v35 offset1:45
	ds_write2_b32 v42, v36, v37 offset0:90 offset1:135
	ds_write2_b32 v42, v21, v23 offset0:180 offset1:225
	ds_write_b32 v42, v20 offset:1080
	s_and_saveexec_b32 s1, s0
	s_cbranch_execz .LBB0_23
; %bb.22:
	v_mul_lo_u16 v4, 0x6d, v4
	v_lshrrev_b16 v4, 8, v4
	v_sub_nc_u16 v16, v7, v4
	v_lshrrev_b16 v16, 1, v16
	v_and_b32_e32 v16, 0x7f, v16
	v_add_nc_u16 v4, v16, v4
	v_lshrrev_b16 v4, 5, v4
	v_mul_lo_u16 v4, v4, 45
	v_sub_nc_u16 v4, v7, v4
	v_and_b32_e32 v4, 0xff, v4
	v_mul_u32_u24_e32 v16, 6, v4
	v_lshl_add_u32 v4, v4, 2, 0
	v_lshlrev_b32_e32 v16, 2, v16
	v_add_nc_u32_e32 v35, 0x600, v4
	s_clause 0x1
	global_load_dwordx4 v[20:23], v16, s[12:13] offset:168
	global_load_dwordx2 v[24:25], v16, s[12:13] offset:184
	v_add_nc_u32_e32 v16, 0x400, v4
	s_waitcnt vmcnt(1)
	v_mul_f16_sdwa v36, v29, v20 dst_sel:DWORD dst_unused:UNUSED_PAD src0_sel:DWORD src1_sel:WORD_1
	s_waitcnt vmcnt(0)
	v_mul_f16_sdwa v37, v34, v25 dst_sel:DWORD dst_unused:UNUSED_PAD src0_sel:DWORD src1_sel:WORD_1
	v_mul_f16_sdwa v38, v8, v23 dst_sel:DWORD dst_unused:UNUSED_PAD src0_sel:DWORD src1_sel:WORD_1
	v_mul_f16_sdwa v39, v10, v22 dst_sel:DWORD dst_unused:UNUSED_PAD src0_sel:DWORD src1_sel:WORD_1
	v_mul_f16_sdwa v40, v32, v21 dst_sel:DWORD dst_unused:UNUSED_PAD src0_sel:DWORD src1_sel:WORD_1
	v_mul_f16_sdwa v41, v33, v24 dst_sel:DWORD dst_unused:UNUSED_PAD src0_sel:DWORD src1_sel:WORD_1
	v_mul_f16_sdwa v42, v19, v25 dst_sel:DWORD dst_unused:UNUSED_PAD src0_sel:DWORD src1_sel:WORD_1
	v_mul_f16_sdwa v43, v14, v20 dst_sel:DWORD dst_unused:UNUSED_PAD src0_sel:DWORD src1_sel:WORD_1
	v_mul_f16_sdwa v46, v18, v24 dst_sel:DWORD dst_unused:UNUSED_PAD src0_sel:DWORD src1_sel:WORD_1
	v_mul_f16_sdwa v47, v15, v21 dst_sel:DWORD dst_unused:UNUSED_PAD src0_sel:DWORD src1_sel:WORD_1
	v_mul_f16_sdwa v44, v12, v22 dst_sel:DWORD dst_unused:UNUSED_PAD src0_sel:DWORD src1_sel:WORD_1
	v_mul_f16_sdwa v45, v13, v23 dst_sel:DWORD dst_unused:UNUSED_PAD src0_sel:DWORD src1_sel:WORD_1
	v_fmac_f16_e32 v36, v14, v20
	v_fmac_f16_e32 v37, v19, v25
	;; [unrolled: 1-line block ×6, first 2 shown]
	v_fma_f16 v12, v34, v25, -v42
	v_fma_f16 v13, v29, v20, -v43
	;; [unrolled: 1-line block ×6, first 2 shown]
	v_add_f16_e32 v21, v13, v12
	v_add_f16_e32 v24, v36, v37
	;; [unrolled: 1-line block ×4, first 2 shown]
	v_sub_f16_e32 v18, v36, v37
	v_sub_f16_e32 v19, v38, v39
	;; [unrolled: 1-line block ×3, first 2 shown]
	v_add_f16_e32 v22, v10, v8
	v_add_f16_e32 v25, v39, v38
	v_sub_f16_e32 v12, v13, v12
	v_sub_f16_e32 v8, v8, v10
	;; [unrolled: 1-line block ×3, first 2 shown]
	v_add_f16_e32 v33, v23, v21
	v_add_f16_e32 v37, v29, v24
	v_sub_f16_e32 v13, v18, v19
	v_sub_f16_e32 v14, v19, v20
	v_add_f16_e32 v15, v19, v20
	v_sub_f16_e32 v19, v21, v22
	v_sub_f16_e32 v32, v22, v23
	;; [unrolled: 1-line block ×6, first 2 shown]
	v_add_f16_e32 v8, v8, v10
	v_sub_f16_e32 v20, v20, v18
	v_add_f16_e32 v22, v22, v33
	v_add_f16_e32 v25, v25, v37
	v_sub_f16_e32 v10, v10, v12
	v_sub_f16_e32 v21, v23, v21
	v_sub_f16_e32 v23, v29, v24
	v_mul_f16_e32 v14, 0x3846, v14
	v_add_f16_e32 v15, v15, v18
	v_mul_f16_e32 v18, 0x3a52, v19
	v_mul_f16_e32 v19, 0x2b26, v32
	;; [unrolled: 1-line block ×4, first 2 shown]
	v_add_f16_e32 v8, v8, v12
	v_mul_f16_e32 v12, 0xbb00, v20
	v_add_f16_e32 v31, v31, v22
	v_add_f16_e32 v30, v30, v25
	v_mul_f16_e32 v29, 0x2b26, v36
	v_mul_f16_e32 v34, 0xbb00, v10
	v_fmamk_f16 v37, v13, 0xb574, v14
	v_fmamk_f16 v32, v32, 0x2b26, v18
	;; [unrolled: 1-line block ×4, first 2 shown]
	v_fma_f16 v12, v13, 0x3574, -v12
	v_fma_f16 v13, v21, 0xb9e0, -v18
	;; [unrolled: 1-line block ×4, first 2 shown]
	v_fmamk_f16 v21, v22, 0xbcab, v31
	v_fmamk_f16 v22, v25, 0xbcab, v30
	v_fma_f16 v18, v23, 0xb9e0, -v24
	v_fma_f16 v24, v38, 0x3574, -v34
	;; [unrolled: 1-line block ×4, first 2 shown]
	v_fmac_f16_e32 v37, 0xb70e, v15
	v_fmac_f16_e32 v39, 0xb70e, v8
	;; [unrolled: 1-line block ×4, first 2 shown]
	v_add_f16_e32 v15, v32, v21
	v_add_f16_e32 v23, v36, v22
	;; [unrolled: 1-line block ×3, first 2 shown]
	v_fmac_f16_e32 v24, 0xb70e, v8
	v_fmac_f16_e32 v10, 0xb70e, v8
	v_add_f16_e32 v18, v18, v22
	v_add_f16_e32 v19, v19, v21
	;; [unrolled: 1-line block ×5, first 2 shown]
	v_sub_f16_e32 v12, v13, v12
	v_sub_f16_e32 v13, v15, v37
	v_add_f16_e32 v15, v39, v23
	v_sub_f16_e32 v22, v23, v39
	v_sub_f16_e32 v29, v19, v14
	v_add_f16_e32 v14, v14, v19
	v_add_f16_e32 v19, v24, v18
	v_sub_f16_e32 v23, v20, v10
	v_add_f16_e32 v10, v10, v20
	v_sub_f16_e32 v18, v18, v24
	v_pack_b32_f16 v8, v30, v31
	v_pack_b32_f16 v13, v15, v13
	;; [unrolled: 1-line block ×7, first 2 shown]
	ds_write2_b32 v16, v8, v13 offset0:59 offset1:104
	ds_write2_b32 v16, v12, v14 offset0:149 offset1:194
	;; [unrolled: 1-line block ×3, first 2 shown]
	ds_write_b32 v4, v18 offset:2340
.LBB0_23:
	s_or_b32 exec_lo, exec_lo, s1
	v_mov_b32_e32 v4, v17
	v_mov_b32_e32 v10, v17
	;; [unrolled: 1-line block ×4, first 2 shown]
	s_waitcnt lgkmcnt(0)
	v_lshlrev_b64 v[13:14], 2, v[3:4]
	v_lshlrev_b64 v[9:10], 2, v[9:10]
	;; [unrolled: 1-line block ×4, first 2 shown]
	s_barrier
	buffer_gl0_inv
	v_add_co_u32 v17, s0, s12, v13
	v_add_co_ci_u32_e64 v18, s0, s13, v14, s0
	v_add_co_u32 v11, s0, s12, v9
	v_add_co_ci_u32_e64 v12, s0, s13, v10, s0
	;; [unrolled: 2-line block ×3, first 2 shown]
	global_load_dword v4, v[17:18], off offset:1248
	v_add_co_u32 v17, s0, 0x800, v17
	v_add_co_ci_u32_e64 v18, s0, 0, v18, s0
	v_add_co_u32 v21, s0, s12, v15
	v_add_co_ci_u32_e64 v22, s0, s13, v16, s0
	s_clause 0x3
	global_load_dword v23, v[17:18], off offset:208
	global_load_dword v24, v[19:20], off offset:1248
	;; [unrolled: 1-line block ×4, first 2 shown]
	v_add_nc_u32_e32 v17, 0x400, v0
	ds_read2_b32 v[11:12], v17 offset0:59 offset1:122
	ds_read_b32 v22, v0 offset:2268
	ds_read2_b32 v[17:18], v17 offset0:185 offset1:248
	ds_read_b32 v29, v28
	ds_read_b32 v30, v27
	ds_read2_b32 v[19:20], v0 offset1:252
	ds_read_b32 v32, v26
	s_waitcnt vmcnt(0) lgkmcnt(0)
	s_barrier
	buffer_gl0_inv
	s_add_u32 s1, s12, 0x9cc
	s_addc_u32 s4, s13, 0
	s_mov_b32 s5, exec_lo
	v_pk_mul_f16 v31, v4, v11 op_sel:[0,1]
	v_pk_fma_f16 v33, v4, v11, v31 op_sel:[0,0,1] op_sel_hi:[1,1,0]
	v_pk_fma_f16 v4, v4, v11, v31 op_sel:[0,0,1] op_sel_hi:[1,0,0] neg_lo:[1,0,0] neg_hi:[1,0,0]
	v_pk_mul_f16 v11, v23, v22 op_sel:[0,1]
	v_pk_mul_f16 v34, v25, v17 op_sel:[0,1]
	;; [unrolled: 1-line block ×4, first 2 shown]
	v_bfi_b32 v4, 0xffff, v33, v4
	v_pk_fma_f16 v33, v23, v22, v11 op_sel:[0,0,1] op_sel_hi:[1,1,0]
	v_pk_fma_f16 v11, v23, v22, v11 op_sel:[0,0,1] op_sel_hi:[1,0,0] neg_lo:[1,0,0] neg_hi:[1,0,0]
	v_pk_fma_f16 v36, v21, v12, v35 op_sel:[0,0,1] op_sel_hi:[1,1,0]
	v_pk_fma_f16 v12, v21, v12, v35 op_sel:[0,0,1] op_sel_hi:[1,0,0] neg_lo:[1,0,0] neg_hi:[1,0,0]
	;; [unrolled: 2-line block ×4, first 2 shown]
	v_bfi_b32 v11, 0xffff, v33, v11
	v_bfi_b32 v12, 0xffff, v36, v12
	;; [unrolled: 1-line block ×3, first 2 shown]
	v_pk_add_f16 v4, v19, v4 neg_lo:[0,1] neg_hi:[0,1]
	v_bfi_b32 v18, 0xffff, v22, v18
	v_pk_add_f16 v11, v20, v11 neg_lo:[0,1] neg_hi:[0,1]
	v_pk_add_f16 v12, v29, v12 neg_lo:[0,1] neg_hi:[0,1]
	;; [unrolled: 1-line block ×3, first 2 shown]
	v_pk_fma_f16 v19, v19, 2.0, v4 op_sel_hi:[1,0,1] neg_lo:[0,0,1] neg_hi:[0,0,1]
	v_pk_add_f16 v18, v32, v18 neg_lo:[0,1] neg_hi:[0,1]
	ds_write_b32 v0, v4 offset:1260
	v_pk_fma_f16 v4, v20, 2.0, v11 op_sel_hi:[1,0,1] neg_lo:[0,0,1] neg_hi:[0,0,1]
	v_pk_fma_f16 v20, v29, 2.0, v12 op_sel_hi:[1,0,1] neg_lo:[0,0,1] neg_hi:[0,0,1]
	v_pk_fma_f16 v21, v30, 2.0, v17 op_sel_hi:[1,0,1] neg_lo:[0,0,1] neg_hi:[0,0,1]
	v_pk_fma_f16 v22, v32, 2.0, v18 op_sel_hi:[1,0,1] neg_lo:[0,0,1] neg_hi:[0,0,1]
	ds_write_b32 v0, v19
	ds_write_b32 v28, v12 offset:1260
	ds_write_b32 v28, v20
	ds_write_b32 v27, v21
	ds_write_b32 v27, v17 offset:1260
	ds_write_b32 v26, v22
	ds_write_b32 v26, v18 offset:1260
	ds_write_b32 v0, v4 offset:1008
	;; [unrolled: 1-line block ×3, first 2 shown]
	s_waitcnt lgkmcnt(0)
	s_barrier
	buffer_gl0_inv
	ds_read_b32 v18, v0
	v_lshlrev_b32_e32 v4, 2, v3
                                        ; implicit-def: $vgpr17
                                        ; implicit-def: $vgpr11
                                        ; implicit-def: $vgpr12
	v_sub_nc_u32_e32 v4, 0, v4
	v_cmpx_ne_u32_e32 0, v3
	s_xor_b32 s5, exec_lo, s5
	s_cbranch_execz .LBB0_25
; %bb.24:
	v_add_co_u32 v11, s0, s1, v13
	v_add_co_ci_u32_e64 v12, s0, s4, v14, s0
	global_load_dword v11, v[11:12], off
	ds_read_b32 v12, v4 offset:2520
	s_waitcnt lgkmcnt(0)
	v_pk_add_f16 v17, v18, v12 neg_lo:[0,1] neg_hi:[0,1]
	v_pk_add_f16 v12, v12, v18
	v_bfi_b32 v18, 0xffff, v17, v12
	v_bfi_b32 v12, 0xffff, v12, v17
	v_pk_mul_f16 v18, v18, 0.5 op_sel_hi:[1,0]
	v_pk_mul_f16 v19, v12, 0.5 op_sel_hi:[1,0]
	s_waitcnt vmcnt(0)
	v_pk_mul_f16 v17, v11, v18 op_sel:[1,0]
	v_pk_mul_f16 v18, v11, v18 op_sel_hi:[0,1]
	v_pk_fma_f16 v11, v12, 0.5, v17 op_sel_hi:[1,0,1]
	v_sub_f16_e32 v12, v19, v17
	v_sub_f16_sdwa v19, v17, v19 dst_sel:DWORD dst_unused:UNUSED_PAD src0_sel:WORD_1 src1_sel:WORD_1
	v_pk_add_f16 v20, v11, v18 op_sel:[0,1] op_sel_hi:[1,0]
	v_pk_add_f16 v21, v11, v18 op_sel:[0,1] op_sel_hi:[1,0] neg_lo:[0,1] neg_hi:[0,1]
	v_sub_f16_sdwa v11, v12, v18 dst_sel:DWORD dst_unused:UNUSED_PAD src0_sel:DWORD src1_sel:WORD_1
	v_sub_f16_e32 v12, v19, v18
                                        ; implicit-def: $vgpr18
	v_bfi_b32 v17, 0xffff, v20, v21
.LBB0_25:
	s_andn2_saveexec_b32 s0, s5
	s_cbranch_execz .LBB0_27
; %bb.26:
	v_mov_b32_e32 v12, 0
	s_waitcnt lgkmcnt(0)
	v_alignbit_b32 v11, s0, v18, 16
	ds_read_u16 v17, v12 offset:1262
	v_pk_add_f16 v19, v11, v18
	v_sub_f16_sdwa v11, v18, v18 dst_sel:DWORD dst_unused:UNUSED_PAD src0_sel:DWORD src1_sel:WORD_1
	s_waitcnt lgkmcnt(0)
	v_xor_b32_e32 v18, 0x8000, v17
	v_pack_b32_f16 v17, v19, 0
	ds_write_b16 v12, v18 offset:1262
.LBB0_27:
	s_or_b32 exec_lo, exec_lo, s0
	v_add_co_u32 v15, s0, s1, v15
	v_add_co_ci_u32_e64 v16, s0, s4, v16, s0
	v_add_co_u32 v9, s0, s1, v9
	v_add_co_ci_u32_e64 v10, s0, s4, v10, s0
	global_load_dword v15, v[15:16], off
	v_add_co_u32 v7, s0, s1, v7
	global_load_dword v9, v[9:10], off
	v_add_co_ci_u32_e64 v8, s0, s4, v8, s0
	global_load_dword v10, v[7:8], off
	v_add_co_u32 v7, s0, s1, v13
	v_add_co_ci_u32_e64 v8, s0, s4, v14, s0
	global_load_dword v7, v[7:8], off offset:1008
	ds_write_b16 v4, v12 offset:2522
	ds_write_b32 v0, v17
	ds_write_b16 v4, v11 offset:2520
	ds_read_b32 v8, v28
	ds_read_b32 v11, v4 offset:2268
	s_waitcnt lgkmcnt(0)
	v_pk_add_f16 v12, v8, v11 neg_lo:[0,1] neg_hi:[0,1]
	v_pk_add_f16 v8, v8, v11
	v_bfi_b32 v11, 0xffff, v12, v8
	v_bfi_b32 v8, 0xffff, v8, v12
	v_pk_mul_f16 v11, v11, 0.5 op_sel_hi:[1,0]
	v_pk_mul_f16 v8, v8, 0.5 op_sel_hi:[1,0]
	s_waitcnt vmcnt(3)
	v_pk_fma_f16 v12, v15, v11, v8 op_sel:[1,0,0]
	v_pk_mul_f16 v13, v15, v11 op_sel_hi:[0,1]
	v_pk_fma_f16 v14, v15, v11, v8 op_sel:[1,0,0] neg_lo:[1,0,0] neg_hi:[1,0,0]
	v_pk_fma_f16 v8, v15, v11, v8 op_sel:[1,0,0] neg_lo:[0,0,1] neg_hi:[0,0,1]
	v_pk_add_f16 v11, v12, v13 op_sel:[0,1] op_sel_hi:[1,0]
	v_pk_add_f16 v12, v12, v13 op_sel:[0,1] op_sel_hi:[1,0] neg_lo:[0,1] neg_hi:[0,1]
	v_pk_add_f16 v14, v14, v13 op_sel:[0,1] op_sel_hi:[1,0] neg_lo:[0,1] neg_hi:[0,1]
	;; [unrolled: 1-line block ×3, first 2 shown]
	v_bfi_b32 v11, 0xffff, v11, v12
	v_bfi_b32 v8, 0xffff, v14, v8
	ds_write_b32 v28, v11
	ds_write_b32 v4, v8 offset:2268
	ds_read_b32 v8, v27
	ds_read_b32 v11, v4 offset:2016
	s_waitcnt lgkmcnt(0)
	v_pk_add_f16 v12, v8, v11 neg_lo:[0,1] neg_hi:[0,1]
	v_pk_add_f16 v8, v8, v11
	v_bfi_b32 v11, 0xffff, v12, v8
	v_bfi_b32 v8, 0xffff, v8, v12
	v_pk_mul_f16 v11, v11, 0.5 op_sel_hi:[1,0]
	v_pk_mul_f16 v8, v8, 0.5 op_sel_hi:[1,0]
	s_waitcnt vmcnt(2)
	v_pk_mul_f16 v13, v9, v11 op_sel_hi:[0,1]
	v_pk_fma_f16 v12, v9, v11, v8 op_sel:[1,0,0]
	v_pk_fma_f16 v14, v9, v11, v8 op_sel:[1,0,0] neg_lo:[1,0,0] neg_hi:[1,0,0]
	v_pk_fma_f16 v8, v9, v11, v8 op_sel:[1,0,0] neg_lo:[0,0,1] neg_hi:[0,0,1]
	v_pk_add_f16 v9, v12, v13 op_sel:[0,1] op_sel_hi:[1,0]
	v_pk_add_f16 v11, v12, v13 op_sel:[0,1] op_sel_hi:[1,0] neg_lo:[0,1] neg_hi:[0,1]
	v_pk_add_f16 v12, v14, v13 op_sel:[0,1] op_sel_hi:[1,0] neg_lo:[0,1] neg_hi:[0,1]
	;; [unrolled: 1-line block ×3, first 2 shown]
	v_bfi_b32 v9, 0xffff, v9, v11
	v_bfi_b32 v8, 0xffff, v12, v8
	ds_write_b32 v27, v9
	ds_write_b32 v4, v8 offset:2016
	ds_read_b32 v8, v26
	ds_read_b32 v9, v4 offset:1764
	s_waitcnt lgkmcnt(0)
	v_pk_add_f16 v11, v8, v9 neg_lo:[0,1] neg_hi:[0,1]
	v_pk_add_f16 v8, v8, v9
	v_bfi_b32 v9, 0xffff, v11, v8
	v_bfi_b32 v8, 0xffff, v8, v11
	v_pk_mul_f16 v9, v9, 0.5 op_sel_hi:[1,0]
	v_pk_mul_f16 v8, v8, 0.5 op_sel_hi:[1,0]
	s_waitcnt vmcnt(1)
	v_pk_mul_f16 v12, v10, v9 op_sel_hi:[0,1]
	v_pk_fma_f16 v11, v10, v9, v8 op_sel:[1,0,0]
	v_pk_fma_f16 v13, v10, v9, v8 op_sel:[1,0,0] neg_lo:[1,0,0] neg_hi:[1,0,0]
	v_pk_fma_f16 v8, v10, v9, v8 op_sel:[1,0,0] neg_lo:[0,0,1] neg_hi:[0,0,1]
	v_pk_add_f16 v9, v11, v12 op_sel:[0,1] op_sel_hi:[1,0]
	v_pk_add_f16 v10, v11, v12 op_sel:[0,1] op_sel_hi:[1,0] neg_lo:[0,1] neg_hi:[0,1]
	v_pk_add_f16 v11, v13, v12 op_sel:[0,1] op_sel_hi:[1,0] neg_lo:[0,1] neg_hi:[0,1]
	;; [unrolled: 1-line block ×3, first 2 shown]
	v_bfi_b32 v9, 0xffff, v9, v10
	v_bfi_b32 v8, 0xffff, v11, v8
	ds_write_b32 v26, v9
	ds_write_b32 v4, v8 offset:1764
	ds_read_b32 v8, v0 offset:1008
	ds_read_b32 v9, v4 offset:1512
	s_waitcnt lgkmcnt(0)
	v_pk_add_f16 v10, v8, v9 neg_lo:[0,1] neg_hi:[0,1]
	v_pk_add_f16 v8, v8, v9
	v_bfi_b32 v9, 0xffff, v10, v8
	v_bfi_b32 v8, 0xffff, v8, v10
	v_pk_mul_f16 v9, v9, 0.5 op_sel_hi:[1,0]
	v_pk_mul_f16 v8, v8, 0.5 op_sel_hi:[1,0]
	s_waitcnt vmcnt(0)
	v_pk_mul_f16 v11, v7, v9 op_sel_hi:[0,1]
	v_pk_fma_f16 v10, v7, v9, v8 op_sel:[1,0,0]
	v_pk_fma_f16 v12, v7, v9, v8 op_sel:[1,0,0] neg_lo:[1,0,0] neg_hi:[1,0,0]
	v_pk_fma_f16 v7, v7, v9, v8 op_sel:[1,0,0] neg_lo:[0,0,1] neg_hi:[0,0,1]
	v_pk_add_f16 v8, v10, v11 op_sel:[0,1] op_sel_hi:[1,0]
	v_pk_add_f16 v9, v10, v11 op_sel:[0,1] op_sel_hi:[1,0] neg_lo:[0,1] neg_hi:[0,1]
	v_pk_add_f16 v10, v12, v11 op_sel:[0,1] op_sel_hi:[1,0] neg_lo:[0,1] neg_hi:[0,1]
	;; [unrolled: 1-line block ×3, first 2 shown]
	v_bfi_b32 v8, 0xffff, v8, v9
	v_bfi_b32 v7, 0xffff, v10, v7
	ds_write_b32 v0, v8 offset:1008
	ds_write_b32 v4, v7 offset:1512
	s_waitcnt lgkmcnt(0)
	s_barrier
	buffer_gl0_inv
	s_and_saveexec_b32 s0, vcc_lo
	s_cbranch_execz .LBB0_30
; %bb.28:
	v_mul_lo_u32 v0, s3, v5
	v_mul_lo_u32 v7, s2, v6
	v_mad_u64_u32 v[5:6], null, s2, v5, 0
	v_lshl_add_u32 v17, v3, 2, 0
	v_mov_b32_e32 v4, 0
	v_add_nc_u32_e32 v9, 0x7e, v3
	ds_read2_b32 v[11:12], v17 offset1:63
	v_add3_u32 v6, v6, v7, v0
	v_lshlrev_b64 v[0:1], 2, v[1:2]
	v_add_nc_u32_e32 v7, 63, v3
	v_mov_b32_e32 v8, v4
	ds_read2_b32 v[15:16], v17 offset0:126 offset1:189
	v_lshlrev_b64 v[5:6], 2, v[5:6]
	v_lshlrev_b64 v[13:14], 2, v[3:4]
	v_mov_b32_e32 v10, v4
	v_add_co_u32 v2, vcc_lo, s10, v5
	v_add_co_ci_u32_e32 v18, vcc_lo, s11, v6, vcc_lo
	v_lshlrev_b64 v[5:6], 2, v[7:8]
	v_add_co_u32 v0, vcc_lo, v2, v0
	v_add_co_ci_u32_e32 v1, vcc_lo, v18, v1, vcc_lo
	v_lshlrev_b64 v[7:8], 2, v[9:10]
	v_add_co_u32 v9, vcc_lo, v0, v13
	v_add_co_ci_u32_e32 v10, vcc_lo, v1, v14, vcc_lo
	v_add_co_u32 v5, vcc_lo, v0, v5
	v_add_co_ci_u32_e32 v6, vcc_lo, v1, v6, vcc_lo
	;; [unrolled: 2-line block ×3, first 2 shown]
	v_add_nc_u32_e32 v2, 0x200, v17
	s_waitcnt lgkmcnt(1)
	global_store_dword v[9:10], v11, off
	v_add_nc_u32_e32 v9, 0xbd, v3
	v_mov_b32_e32 v10, v4
	global_store_dword v[5:6], v12, off
	s_waitcnt lgkmcnt(0)
	global_store_dword v[7:8], v15, off
	v_add_nc_u32_e32 v13, 0xfc, v3
	v_mov_b32_e32 v14, v4
	ds_read2_b32 v[7:8], v2 offset0:124 offset1:187
	v_lshlrev_b64 v[5:6], 2, v[9:10]
	v_add_nc_u32_e32 v11, 0x13b, v3
	v_mov_b32_e32 v12, v4
	v_lshlrev_b64 v[9:10], 2, v[13:14]
	v_add_nc_u32_e32 v13, 0x17a, v3
	v_add_nc_u32_e32 v2, 0x400, v17
	v_add_co_u32 v5, vcc_lo, v0, v5
	v_lshlrev_b64 v[11:12], 2, v[11:12]
	v_add_co_ci_u32_e32 v6, vcc_lo, v1, v6, vcc_lo
	v_add_co_u32 v9, vcc_lo, v0, v9
	v_add_co_ci_u32_e32 v10, vcc_lo, v1, v10, vcc_lo
	v_add_co_u32 v11, vcc_lo, v0, v11
	v_add_co_ci_u32_e32 v12, vcc_lo, v1, v12, vcc_lo
	global_store_dword v[5:6], v16, off
	s_waitcnt lgkmcnt(0)
	global_store_dword v[9:10], v7, off
	global_store_dword v[11:12], v8, off
	v_add_nc_u32_e32 v9, 0x1b9, v3
	v_mov_b32_e32 v10, v4
	ds_read2_b32 v[5:6], v2 offset0:122 offset1:185
	v_lshlrev_b64 v[7:8], 2, v[13:14]
	v_add_nc_u32_e32 v2, 0x600, v17
	v_add_nc_u32_e32 v11, 0x1f8, v3
	v_mov_b32_e32 v12, v4
	v_lshlrev_b64 v[9:10], 2, v[9:10]
	v_add_nc_u32_e32 v15, 0x237, v3
	v_mov_b32_e32 v16, v4
	ds_read2_b32 v[13:14], v2 offset0:120 offset1:183
	v_add_co_u32 v7, vcc_lo, v0, v7
	v_lshlrev_b64 v[11:12], 2, v[11:12]
	v_add_co_ci_u32_e32 v8, vcc_lo, v1, v8, vcc_lo
	v_add_co_u32 v9, vcc_lo, v0, v9
	v_lshlrev_b64 v[15:16], 2, v[15:16]
	v_add_co_ci_u32_e32 v10, vcc_lo, v1, v10, vcc_lo
	v_add_co_u32 v11, vcc_lo, v0, v11
	v_add_co_ci_u32_e32 v12, vcc_lo, v1, v12, vcc_lo
	v_add_co_u32 v15, vcc_lo, v0, v15
	v_add_co_ci_u32_e32 v16, vcc_lo, v1, v16, vcc_lo
	v_cmp_eq_u32_e32 vcc_lo, 62, v3
	s_waitcnt lgkmcnt(1)
	global_store_dword v[7:8], v5, off
	global_store_dword v[9:10], v6, off
	s_waitcnt lgkmcnt(0)
	global_store_dword v[11:12], v13, off
	global_store_dword v[15:16], v14, off
	s_and_b32 exec_lo, exec_lo, vcc_lo
	s_cbranch_execz .LBB0_30
; %bb.29:
	ds_read_b32 v2, v4 offset:2520
	v_add_co_u32 v0, vcc_lo, 0x800, v0
	v_add_co_ci_u32_e32 v1, vcc_lo, 0, v1, vcc_lo
	s_waitcnt lgkmcnt(0)
	global_store_dword v[0:1], v2, off offset:472
.LBB0_30:
	s_endpgm
	.section	.rodata,"a",@progbits
	.p2align	6, 0x0
	.amdhsa_kernel fft_rtc_back_len630_factors_3_3_5_7_2_wgs_63_tpt_63_halfLds_half_op_CI_CI_unitstride_sbrr_R2C_dirReg
		.amdhsa_group_segment_fixed_size 0
		.amdhsa_private_segment_fixed_size 0
		.amdhsa_kernarg_size 104
		.amdhsa_user_sgpr_count 6
		.amdhsa_user_sgpr_private_segment_buffer 1
		.amdhsa_user_sgpr_dispatch_ptr 0
		.amdhsa_user_sgpr_queue_ptr 0
		.amdhsa_user_sgpr_kernarg_segment_ptr 1
		.amdhsa_user_sgpr_dispatch_id 0
		.amdhsa_user_sgpr_flat_scratch_init 0
		.amdhsa_user_sgpr_private_segment_size 0
		.amdhsa_wavefront_size32 1
		.amdhsa_uses_dynamic_stack 0
		.amdhsa_system_sgpr_private_segment_wavefront_offset 0
		.amdhsa_system_sgpr_workgroup_id_x 1
		.amdhsa_system_sgpr_workgroup_id_y 0
		.amdhsa_system_sgpr_workgroup_id_z 0
		.amdhsa_system_sgpr_workgroup_info 0
		.amdhsa_system_vgpr_workitem_id 0
		.amdhsa_next_free_vgpr 73
		.amdhsa_next_free_sgpr 27
		.amdhsa_reserve_vcc 1
		.amdhsa_reserve_flat_scratch 0
		.amdhsa_float_round_mode_32 0
		.amdhsa_float_round_mode_16_64 0
		.amdhsa_float_denorm_mode_32 3
		.amdhsa_float_denorm_mode_16_64 3
		.amdhsa_dx10_clamp 1
		.amdhsa_ieee_mode 1
		.amdhsa_fp16_overflow 0
		.amdhsa_workgroup_processor_mode 1
		.amdhsa_memory_ordered 1
		.amdhsa_forward_progress 0
		.amdhsa_shared_vgpr_count 0
		.amdhsa_exception_fp_ieee_invalid_op 0
		.amdhsa_exception_fp_denorm_src 0
		.amdhsa_exception_fp_ieee_div_zero 0
		.amdhsa_exception_fp_ieee_overflow 0
		.amdhsa_exception_fp_ieee_underflow 0
		.amdhsa_exception_fp_ieee_inexact 0
		.amdhsa_exception_int_div_zero 0
	.end_amdhsa_kernel
	.text
.Lfunc_end0:
	.size	fft_rtc_back_len630_factors_3_3_5_7_2_wgs_63_tpt_63_halfLds_half_op_CI_CI_unitstride_sbrr_R2C_dirReg, .Lfunc_end0-fft_rtc_back_len630_factors_3_3_5_7_2_wgs_63_tpt_63_halfLds_half_op_CI_CI_unitstride_sbrr_R2C_dirReg
                                        ; -- End function
	.section	.AMDGPU.csdata,"",@progbits
; Kernel info:
; codeLenInByte = 9052
; NumSgprs: 29
; NumVgprs: 73
; ScratchSize: 0
; MemoryBound: 0
; FloatMode: 240
; IeeeMode: 1
; LDSByteSize: 0 bytes/workgroup (compile time only)
; SGPRBlocks: 3
; VGPRBlocks: 9
; NumSGPRsForWavesPerEU: 29
; NumVGPRsForWavesPerEU: 73
; Occupancy: 12
; WaveLimiterHint : 1
; COMPUTE_PGM_RSRC2:SCRATCH_EN: 0
; COMPUTE_PGM_RSRC2:USER_SGPR: 6
; COMPUTE_PGM_RSRC2:TRAP_HANDLER: 0
; COMPUTE_PGM_RSRC2:TGID_X_EN: 1
; COMPUTE_PGM_RSRC2:TGID_Y_EN: 0
; COMPUTE_PGM_RSRC2:TGID_Z_EN: 0
; COMPUTE_PGM_RSRC2:TIDIG_COMP_CNT: 0
	.text
	.p2alignl 6, 3214868480
	.fill 48, 4, 3214868480
	.type	__hip_cuid_60f70421740594f7,@object ; @__hip_cuid_60f70421740594f7
	.section	.bss,"aw",@nobits
	.globl	__hip_cuid_60f70421740594f7
__hip_cuid_60f70421740594f7:
	.byte	0                               ; 0x0
	.size	__hip_cuid_60f70421740594f7, 1

	.ident	"AMD clang version 19.0.0git (https://github.com/RadeonOpenCompute/llvm-project roc-6.4.0 25133 c7fe45cf4b819c5991fe208aaa96edf142730f1d)"
	.section	".note.GNU-stack","",@progbits
	.addrsig
	.addrsig_sym __hip_cuid_60f70421740594f7
	.amdgpu_metadata
---
amdhsa.kernels:
  - .args:
      - .actual_access:  read_only
        .address_space:  global
        .offset:         0
        .size:           8
        .value_kind:     global_buffer
      - .offset:         8
        .size:           8
        .value_kind:     by_value
      - .actual_access:  read_only
        .address_space:  global
        .offset:         16
        .size:           8
        .value_kind:     global_buffer
      - .actual_access:  read_only
        .address_space:  global
        .offset:         24
        .size:           8
        .value_kind:     global_buffer
      - .actual_access:  read_only
        .address_space:  global
        .offset:         32
        .size:           8
        .value_kind:     global_buffer
      - .offset:         40
        .size:           8
        .value_kind:     by_value
      - .actual_access:  read_only
        .address_space:  global
        .offset:         48
        .size:           8
        .value_kind:     global_buffer
      - .actual_access:  read_only
        .address_space:  global
        .offset:         56
        .size:           8
        .value_kind:     global_buffer
      - .offset:         64
        .size:           4
        .value_kind:     by_value
      - .actual_access:  read_only
        .address_space:  global
        .offset:         72
        .size:           8
        .value_kind:     global_buffer
      - .actual_access:  read_only
        .address_space:  global
        .offset:         80
        .size:           8
        .value_kind:     global_buffer
      - .actual_access:  read_only
        .address_space:  global
        .offset:         88
        .size:           8
        .value_kind:     global_buffer
      - .actual_access:  write_only
        .address_space:  global
        .offset:         96
        .size:           8
        .value_kind:     global_buffer
    .group_segment_fixed_size: 0
    .kernarg_segment_align: 8
    .kernarg_segment_size: 104
    .language:       OpenCL C
    .language_version:
      - 2
      - 0
    .max_flat_workgroup_size: 63
    .name:           fft_rtc_back_len630_factors_3_3_5_7_2_wgs_63_tpt_63_halfLds_half_op_CI_CI_unitstride_sbrr_R2C_dirReg
    .private_segment_fixed_size: 0
    .sgpr_count:     29
    .sgpr_spill_count: 0
    .symbol:         fft_rtc_back_len630_factors_3_3_5_7_2_wgs_63_tpt_63_halfLds_half_op_CI_CI_unitstride_sbrr_R2C_dirReg.kd
    .uniform_work_group_size: 1
    .uses_dynamic_stack: false
    .vgpr_count:     73
    .vgpr_spill_count: 0
    .wavefront_size: 32
    .workgroup_processor_mode: 1
amdhsa.target:   amdgcn-amd-amdhsa--gfx1030
amdhsa.version:
  - 1
  - 2
...

	.end_amdgpu_metadata
